;; amdgpu-corpus repo=ROCm/rocFFT kind=compiled arch=gfx1030 opt=O3
	.text
	.amdgcn_target "amdgcn-amd-amdhsa--gfx1030"
	.amdhsa_code_object_version 6
	.protected	fft_rtc_fwd_len594_factors_11_3_6_3_wgs_99_tpt_99_half_ip_CI_sbrr_dirReg ; -- Begin function fft_rtc_fwd_len594_factors_11_3_6_3_wgs_99_tpt_99_half_ip_CI_sbrr_dirReg
	.globl	fft_rtc_fwd_len594_factors_11_3_6_3_wgs_99_tpt_99_half_ip_CI_sbrr_dirReg
	.p2align	8
	.type	fft_rtc_fwd_len594_factors_11_3_6_3_wgs_99_tpt_99_half_ip_CI_sbrr_dirReg,@function
fft_rtc_fwd_len594_factors_11_3_6_3_wgs_99_tpt_99_half_ip_CI_sbrr_dirReg: ; @fft_rtc_fwd_len594_factors_11_3_6_3_wgs_99_tpt_99_half_ip_CI_sbrr_dirReg
; %bb.0:
	s_clause 0x2
	s_load_dwordx2 s[14:15], s[4:5], 0x18
	s_load_dwordx4 s[8:11], s[4:5], 0x0
	s_load_dwordx2 s[12:13], s[4:5], 0x50
	v_mul_u32_u24_e32 v1, 0x296, v0
	v_mov_b32_e32 v3, 0
	v_add_nc_u32_sdwa v5, s6, v1 dst_sel:DWORD dst_unused:UNUSED_PAD src0_sel:DWORD src1_sel:WORD_1
	v_mov_b32_e32 v1, 0
	v_mov_b32_e32 v6, v3
	v_mov_b32_e32 v2, 0
	s_waitcnt lgkmcnt(0)
	s_load_dwordx2 s[2:3], s[14:15], 0x0
	v_cmp_lt_u64_e64 s0, s[10:11], 2
	s_and_b32 vcc_lo, exec_lo, s0
	s_cbranch_vccnz .LBB0_8
; %bb.1:
	s_load_dwordx2 s[0:1], s[4:5], 0x10
	v_mov_b32_e32 v1, 0
	s_add_u32 s6, s14, 8
	v_mov_b32_e32 v2, 0
	s_addc_u32 s7, s15, 0
	s_mov_b64 s[18:19], 1
	s_waitcnt lgkmcnt(0)
	s_add_u32 s16, s0, 8
	s_addc_u32 s17, s1, 0
.LBB0_2:                                ; =>This Inner Loop Header: Depth=1
	s_load_dwordx2 s[20:21], s[16:17], 0x0
                                        ; implicit-def: $vgpr7_vgpr8
	s_mov_b32 s0, exec_lo
	s_waitcnt lgkmcnt(0)
	v_or_b32_e32 v4, s21, v6
	v_cmpx_ne_u64_e32 0, v[3:4]
	s_xor_b32 s1, exec_lo, s0
	s_cbranch_execz .LBB0_4
; %bb.3:                                ;   in Loop: Header=BB0_2 Depth=1
	v_cvt_f32_u32_e32 v4, s20
	v_cvt_f32_u32_e32 v7, s21
	s_sub_u32 s0, 0, s20
	s_subb_u32 s22, 0, s21
	v_fmac_f32_e32 v4, 0x4f800000, v7
	v_rcp_f32_e32 v4, v4
	v_mul_f32_e32 v4, 0x5f7ffffc, v4
	v_mul_f32_e32 v7, 0x2f800000, v4
	v_trunc_f32_e32 v7, v7
	v_fmac_f32_e32 v4, 0xcf800000, v7
	v_cvt_u32_f32_e32 v7, v7
	v_cvt_u32_f32_e32 v4, v4
	v_mul_lo_u32 v8, s0, v7
	v_mul_hi_u32 v9, s0, v4
	v_mul_lo_u32 v10, s22, v4
	v_add_nc_u32_e32 v8, v9, v8
	v_mul_lo_u32 v9, s0, v4
	v_add_nc_u32_e32 v8, v8, v10
	v_mul_hi_u32 v10, v4, v9
	v_mul_lo_u32 v11, v4, v8
	v_mul_hi_u32 v12, v4, v8
	v_mul_hi_u32 v13, v7, v9
	v_mul_lo_u32 v9, v7, v9
	v_mul_hi_u32 v14, v7, v8
	v_mul_lo_u32 v8, v7, v8
	v_add_co_u32 v10, vcc_lo, v10, v11
	v_add_co_ci_u32_e32 v11, vcc_lo, 0, v12, vcc_lo
	v_add_co_u32 v9, vcc_lo, v10, v9
	v_add_co_ci_u32_e32 v9, vcc_lo, v11, v13, vcc_lo
	v_add_co_ci_u32_e32 v10, vcc_lo, 0, v14, vcc_lo
	v_add_co_u32 v8, vcc_lo, v9, v8
	v_add_co_ci_u32_e32 v9, vcc_lo, 0, v10, vcc_lo
	v_add_co_u32 v4, vcc_lo, v4, v8
	v_add_co_ci_u32_e32 v7, vcc_lo, v7, v9, vcc_lo
	v_mul_hi_u32 v8, s0, v4
	v_mul_lo_u32 v10, s22, v4
	v_mul_lo_u32 v9, s0, v7
	v_add_nc_u32_e32 v8, v8, v9
	v_mul_lo_u32 v9, s0, v4
	v_add_nc_u32_e32 v8, v8, v10
	v_mul_hi_u32 v10, v4, v9
	v_mul_lo_u32 v11, v4, v8
	v_mul_hi_u32 v12, v4, v8
	v_mul_hi_u32 v13, v7, v9
	v_mul_lo_u32 v9, v7, v9
	v_mul_hi_u32 v14, v7, v8
	v_mul_lo_u32 v8, v7, v8
	v_add_co_u32 v10, vcc_lo, v10, v11
	v_add_co_ci_u32_e32 v11, vcc_lo, 0, v12, vcc_lo
	v_add_co_u32 v9, vcc_lo, v10, v9
	v_add_co_ci_u32_e32 v9, vcc_lo, v11, v13, vcc_lo
	v_add_co_ci_u32_e32 v10, vcc_lo, 0, v14, vcc_lo
	v_add_co_u32 v8, vcc_lo, v9, v8
	v_add_co_ci_u32_e32 v9, vcc_lo, 0, v10, vcc_lo
	v_add_co_u32 v4, vcc_lo, v4, v8
	v_add_co_ci_u32_e32 v11, vcc_lo, v7, v9, vcc_lo
	v_mul_hi_u32 v13, v5, v4
	v_mad_u64_u32 v[9:10], null, v6, v4, 0
	v_mad_u64_u32 v[7:8], null, v5, v11, 0
	;; [unrolled: 1-line block ×3, first 2 shown]
	v_add_co_u32 v4, vcc_lo, v13, v7
	v_add_co_ci_u32_e32 v7, vcc_lo, 0, v8, vcc_lo
	v_add_co_u32 v4, vcc_lo, v4, v9
	v_add_co_ci_u32_e32 v4, vcc_lo, v7, v10, vcc_lo
	v_add_co_ci_u32_e32 v7, vcc_lo, 0, v12, vcc_lo
	v_add_co_u32 v4, vcc_lo, v4, v11
	v_add_co_ci_u32_e32 v9, vcc_lo, 0, v7, vcc_lo
	v_mul_lo_u32 v10, s21, v4
	v_mad_u64_u32 v[7:8], null, s20, v4, 0
	v_mul_lo_u32 v11, s20, v9
	v_sub_co_u32 v7, vcc_lo, v5, v7
	v_add3_u32 v8, v8, v11, v10
	v_sub_nc_u32_e32 v10, v6, v8
	v_subrev_co_ci_u32_e64 v10, s0, s21, v10, vcc_lo
	v_add_co_u32 v11, s0, v4, 2
	v_add_co_ci_u32_e64 v12, s0, 0, v9, s0
	v_sub_co_u32 v13, s0, v7, s20
	v_sub_co_ci_u32_e32 v8, vcc_lo, v6, v8, vcc_lo
	v_subrev_co_ci_u32_e64 v10, s0, 0, v10, s0
	v_cmp_le_u32_e32 vcc_lo, s20, v13
	v_cmp_eq_u32_e64 s0, s21, v8
	v_cndmask_b32_e64 v13, 0, -1, vcc_lo
	v_cmp_le_u32_e32 vcc_lo, s21, v10
	v_cndmask_b32_e64 v14, 0, -1, vcc_lo
	v_cmp_le_u32_e32 vcc_lo, s20, v7
	;; [unrolled: 2-line block ×3, first 2 shown]
	v_cndmask_b32_e64 v15, 0, -1, vcc_lo
	v_cmp_eq_u32_e32 vcc_lo, s21, v10
	v_cndmask_b32_e64 v7, v15, v7, s0
	v_cndmask_b32_e32 v10, v14, v13, vcc_lo
	v_add_co_u32 v13, vcc_lo, v4, 1
	v_add_co_ci_u32_e32 v14, vcc_lo, 0, v9, vcc_lo
	v_cmp_ne_u32_e32 vcc_lo, 0, v10
	v_cndmask_b32_e32 v8, v14, v12, vcc_lo
	v_cndmask_b32_e32 v10, v13, v11, vcc_lo
	v_cmp_ne_u32_e32 vcc_lo, 0, v7
	v_cndmask_b32_e32 v8, v9, v8, vcc_lo
	v_cndmask_b32_e32 v7, v4, v10, vcc_lo
.LBB0_4:                                ;   in Loop: Header=BB0_2 Depth=1
	s_andn2_saveexec_b32 s0, s1
	s_cbranch_execz .LBB0_6
; %bb.5:                                ;   in Loop: Header=BB0_2 Depth=1
	v_cvt_f32_u32_e32 v4, s20
	s_sub_i32 s1, 0, s20
	v_rcp_iflag_f32_e32 v4, v4
	v_mul_f32_e32 v4, 0x4f7ffffe, v4
	v_cvt_u32_f32_e32 v4, v4
	v_mul_lo_u32 v7, s1, v4
	v_mul_hi_u32 v7, v4, v7
	v_add_nc_u32_e32 v4, v4, v7
	v_mul_hi_u32 v4, v5, v4
	v_mul_lo_u32 v7, v4, s20
	v_add_nc_u32_e32 v8, 1, v4
	v_sub_nc_u32_e32 v7, v5, v7
	v_subrev_nc_u32_e32 v9, s20, v7
	v_cmp_le_u32_e32 vcc_lo, s20, v7
	v_cndmask_b32_e32 v7, v7, v9, vcc_lo
	v_cndmask_b32_e32 v4, v4, v8, vcc_lo
	v_cmp_le_u32_e32 vcc_lo, s20, v7
	v_add_nc_u32_e32 v8, 1, v4
	v_cndmask_b32_e32 v7, v4, v8, vcc_lo
	v_mov_b32_e32 v8, v3
.LBB0_6:                                ;   in Loop: Header=BB0_2 Depth=1
	s_or_b32 exec_lo, exec_lo, s0
	s_load_dwordx2 s[0:1], s[6:7], 0x0
	v_mul_lo_u32 v4, v8, s20
	v_mul_lo_u32 v11, v7, s21
	v_mad_u64_u32 v[9:10], null, v7, s20, 0
	s_add_u32 s18, s18, 1
	s_addc_u32 s19, s19, 0
	s_add_u32 s6, s6, 8
	s_addc_u32 s7, s7, 0
	;; [unrolled: 2-line block ×3, first 2 shown]
	v_add3_u32 v4, v10, v11, v4
	v_sub_co_u32 v5, vcc_lo, v5, v9
	v_sub_co_ci_u32_e32 v4, vcc_lo, v6, v4, vcc_lo
	s_waitcnt lgkmcnt(0)
	v_mul_lo_u32 v6, s1, v5
	v_mul_lo_u32 v4, s0, v4
	v_mad_u64_u32 v[1:2], null, s0, v5, v[1:2]
	v_cmp_ge_u64_e64 s0, s[18:19], s[10:11]
	s_and_b32 vcc_lo, exec_lo, s0
	v_add3_u32 v2, v6, v2, v4
	s_cbranch_vccnz .LBB0_9
; %bb.7:                                ;   in Loop: Header=BB0_2 Depth=1
	v_mov_b32_e32 v5, v7
	v_mov_b32_e32 v6, v8
	s_branch .LBB0_2
.LBB0_8:
	v_mov_b32_e32 v8, v6
	v_mov_b32_e32 v7, v5
.LBB0_9:
	s_lshl_b64 s[0:1], s[10:11], 3
	v_mul_hi_u32 v5, 0x295fad5, v0
	s_add_u32 s0, s14, s0
	s_addc_u32 s1, s15, s1
                                        ; implicit-def: $vgpr24
                                        ; implicit-def: $vgpr17
                                        ; implicit-def: $vgpr23
                                        ; implicit-def: $vgpr16
                                        ; implicit-def: $vgpr21
                                        ; implicit-def: $vgpr13
                                        ; implicit-def: $vgpr20
                                        ; implicit-def: $vgpr12
                                        ; implicit-def: $vgpr18
                                        ; implicit-def: $vgpr11
                                        ; implicit-def: $vgpr15
                                        ; implicit-def: $vgpr19
                                        ; implicit-def: $vgpr10
                                        ; implicit-def: $vgpr22
                                        ; implicit-def: $vgpr14
	s_load_dwordx2 s[0:1], s[0:1], 0x0
	s_load_dwordx2 s[4:5], s[4:5], 0x20
	s_waitcnt lgkmcnt(0)
	v_mul_lo_u32 v6, s0, v8
	v_mul_lo_u32 v9, s1, v7
	v_mad_u64_u32 v[3:4], null, s0, v7, v[1:2]
	v_mul_u32_u24_e32 v1, 0x63, v5
	v_cmp_gt_u64_e32 vcc_lo, s[4:5], v[7:8]
	v_mov_b32_e32 v5, 0
                                        ; implicit-def: $vgpr8
                                        ; implicit-def: $vgpr7
	v_sub_nc_u32_e32 v2, v0, v1
	v_add3_u32 v4, v9, v4, v6
                                        ; implicit-def: $vgpr9
                                        ; implicit-def: $vgpr6
	v_cmp_gt_u32_e64 s0, 54, v2
	v_lshlrev_b64 v[0:1], 2, v[3:4]
	v_mov_b32_e32 v3, 0
                                        ; implicit-def: $vgpr4
	s_and_b32 s1, vcc_lo, s0
	s_and_saveexec_b32 s4, s1
	s_cbranch_execz .LBB0_11
; %bb.10:
	v_add_nc_u32_e32 v10, 54, v2
	v_mad_u64_u32 v[3:4], null, s2, v2, 0
	v_add_nc_u32_e32 v13, 0x6c, v2
	v_add_nc_u32_e32 v15, 0xa2, v2
	v_mad_u64_u32 v[5:6], null, s2, v10, 0
	v_add_nc_u32_e32 v18, 0x10e, v2
	v_add_co_u32 v31, s1, s12, v0
	v_add_co_ci_u32_e64 v32, s1, s13, v1, s1
	v_add_nc_u32_e32 v20, 0x144, v2
	v_mad_u64_u32 v[7:8], null, s3, v2, v[4:5]
	v_mad_u64_u32 v[8:9], null, s2, v13, 0
	v_add_nc_u32_e32 v24, 0x17a, v2
	v_add_nc_u32_e32 v25, 0x1b0, v2
	;; [unrolled: 1-line block ×4, first 2 shown]
	v_mad_u64_u32 v[10:11], null, s3, v10, v[6:7]
	v_mov_b32_e32 v4, v7
	v_mov_b32_e32 v7, v9
	v_mad_u64_u32 v[11:12], null, s2, v15, 0
	v_lshlrev_b64 v[3:4], 2, v[3:4]
	v_mov_b32_e32 v6, v10
	v_mad_u64_u32 v[9:10], null, s3, v13, v[7:8]
	v_add_nc_u32_e32 v10, 0xd8, v2
	v_mov_b32_e32 v7, v12
	v_lshlrev_b64 v[5:6], 2, v[5:6]
	v_add_co_u32 v3, s1, v31, v3
	v_mad_u64_u32 v[13:14], null, s2, v10, 0
	v_mad_u64_u32 v[15:16], null, s3, v15, v[7:8]
	v_lshlrev_b64 v[7:8], 2, v[8:9]
	v_mad_u64_u32 v[16:17], null, s2, v18, 0
	v_add_co_ci_u32_e64 v4, s1, v32, v4, s1
	v_mov_b32_e32 v9, v14
	v_mov_b32_e32 v12, v15
	v_add_co_u32 v5, s1, v31, v5
	v_add_co_ci_u32_e64 v6, s1, v32, v6, s1
	v_mad_u64_u32 v[9:10], null, s3, v10, v[9:10]
	v_lshlrev_b64 v[11:12], 2, v[11:12]
	v_mov_b32_e32 v10, v17
	v_add_co_u32 v7, s1, v31, v7
	v_add_co_ci_u32_e64 v8, s1, v32, v8, s1
	v_mov_b32_e32 v14, v9
	v_mad_u64_u32 v[9:10], null, s3, v18, v[10:11]
	v_mad_u64_u32 v[18:19], null, s2, v20, 0
	v_add_co_u32 v10, s1, v31, v11
	v_add_co_ci_u32_e64 v11, s1, v32, v12, s1
	v_mov_b32_e32 v17, v9
	v_lshlrev_b64 v[12:13], 2, v[13:14]
	v_mov_b32_e32 v9, v19
	v_mad_u64_u32 v[14:15], null, s2, v24, 0
	v_mad_u64_u32 v[19:20], null, s3, v20, v[9:10]
	;; [unrolled: 1-line block ×3, first 2 shown]
	v_mov_b32_e32 v9, v15
	v_add_co_u32 v22, s1, v31, v12
	v_add_co_ci_u32_e64 v23, s1, v32, v13, s1
	v_lshlrev_b64 v[12:13], 2, v[16:17]
	v_mad_u64_u32 v[15:16], null, s3, v24, v[9:10]
	v_mov_b32_e32 v9, v21
	v_mad_u64_u32 v[16:17], null, s2, v29, 0
	v_add_co_u32 v27, s1, v31, v12
	v_mad_u64_u32 v[24:25], null, s3, v25, v[9:10]
	v_mad_u64_u32 v[25:26], null, s2, v30, 0
	v_mov_b32_e32 v9, v17
	v_add_co_ci_u32_e64 v28, s1, v32, v13, s1
	v_lshlrev_b64 v[12:13], 2, v[18:19]
	v_mov_b32_e32 v21, v24
	v_mad_u64_u32 v[17:18], null, s3, v29, v[9:10]
	v_mov_b32_e32 v9, v26
	v_add_co_u32 v18, s1, v31, v12
	v_add_co_ci_u32_e64 v19, s1, v32, v13, s1
	v_lshlrev_b64 v[12:13], 2, v[14:15]
	v_mad_u64_u32 v[14:15], null, s3, v30, v[9:10]
	v_lshlrev_b64 v[20:21], 2, v[20:21]
	v_add_co_u32 v29, s1, v31, v12
	v_add_co_ci_u32_e64 v30, s1, v32, v13, s1
	v_mov_b32_e32 v26, v14
	v_lshlrev_b64 v[12:13], 2, v[16:17]
	v_add_co_u32 v20, s1, v31, v20
	v_add_co_ci_u32_e64 v21, s1, v32, v21, s1
	v_lshlrev_b64 v[14:15], 2, v[25:26]
	v_add_co_u32 v24, s1, v31, v12
	v_add_co_ci_u32_e64 v25, s1, v32, v13, s1
	v_add_co_u32 v31, s1, v31, v14
	v_add_co_ci_u32_e64 v32, s1, v32, v15, s1
	s_clause 0xa
	global_load_dword v3, v[3:4], off
	global_load_dword v17, v[5:6], off
	;; [unrolled: 1-line block ×11, first 2 shown]
	s_waitcnt vmcnt(10)
	v_lshrrev_b32_e32 v5, 16, v3
	s_waitcnt vmcnt(9)
	v_lshrrev_b32_e32 v24, 16, v17
	;; [unrolled: 2-line block ×11, first 2 shown]
.LBB0_11:
	s_or_b32 exec_lo, exec_lo, s4
	s_and_saveexec_b32 s1, s0
	s_cbranch_execz .LBB0_13
; %bb.12:
	v_sub_f16_e32 v25, v17, v4
	v_add_f16_e32 v26, v24, v8
	v_sub_f16_e32 v27, v16, v6
	v_add_f16_e32 v28, v23, v11
	v_sub_f16_e32 v29, v13, v7
	v_mul_f16_e32 v30, 0xb482, v25
	v_add_f16_e32 v36, v17, v4
	v_mul_f16_e32 v34, 0x3853, v27
	v_add_f16_e32 v31, v21, v15
	v_sub_f16_e32 v37, v24, v8
	v_fmamk_f16 v35, v26, 0xbbad, v30
	v_mul_f16_e32 v38, 0xba0c, v29
	v_fmamk_f16 v39, v28, 0x3abb, v34
	v_mul_f16_e32 v40, 0xbbad, v36
	v_add_f16_e32 v41, v16, v6
	v_add_f16_e32 v35, v5, v35
	v_sub_f16_e32 v42, v23, v11
	v_fmamk_f16 v43, v31, 0xb93d, v38
	v_add_f16_e32 v45, v13, v7
	v_mul_f16_e32 v44, 0x3abb, v41
	v_add_f16_e32 v35, v35, v39
	v_fmamk_f16 v39, v37, 0x3482, v40
	v_sub_f16_e32 v32, v12, v10
	v_mul_f16_e32 v47, 0xb93d, v45
	v_sub_f16_e32 v48, v21, v15
	v_add_f16_e32 v35, v35, v43
	v_add_f16_e32 v39, v3, v39
	v_fmamk_f16 v43, v42, 0xb853, v44
	v_add_f16_e32 v49, v12, v10
	v_add_f16_e32 v33, v20, v19
	v_mul_f16_e32 v46, 0x3b47, v32
	v_sub_f16_e32 v51, v9, v14
	v_add_f16_e32 v39, v39, v43
	v_fmamk_f16 v43, v48, 0x3a0c, v47
	v_mul_f16_e32 v52, 0x36a6, v49
	v_sub_f16_e32 v53, v20, v19
	v_fmamk_f16 v50, v33, 0x36a6, v46
	v_add_f16_e32 v54, v9, v14
	v_mul_f16_e32 v55, 0xbbeb, v51
	v_add_f16_e32 v56, v18, v22
	v_add_f16_e32 v39, v39, v43
	v_fmamk_f16 v43, v53, 0xbb47, v52
	v_mul_f16_e32 v58, 0xba0c, v25
	v_mul_f16_e32 v57, 0xb08e, v54
	v_sub_f16_e32 v59, v18, v22
	v_add_f16_e32 v35, v35, v50
	v_fmamk_f16 v50, v56, 0xb08e, v55
	v_add_f16_e32 v39, v39, v43
	v_fmamk_f16 v43, v26, 0xb93d, v58
	v_mul_f16_e32 v60, 0x3beb, v27
	v_fmamk_f16 v61, v59, 0x3beb, v57
	v_add_f16_e32 v35, v35, v50
	v_mul_f16_e32 v50, 0xb93d, v36
	v_add_f16_e32 v43, v5, v43
	v_fmamk_f16 v62, v28, 0xb08e, v60
	v_mul_f16_e32 v63, 0xb853, v29
	v_add_f16_e32 v39, v39, v61
	v_fmamk_f16 v61, v37, 0x3a0c, v50
	;; [unrolled: 3-line block ×5, first 2 shown]
	v_mul_f16_e32 v68, 0x3b47, v51
	v_fma_f16 v30, v26, 0xbbad, -v30
	v_fmac_f16_e32 v40, 0xb482, v37
	v_add_f16_e32 v61, v61, v66
	v_fmamk_f16 v66, v48, 0x3853, v67
	v_mul_f16_e32 v69, 0xbbad, v49
	v_add_f16_e32 v43, v43, v62
	v_fmamk_f16 v62, v56, 0x36a6, v68
	v_mul_f16_e32 v70, 0xbbeb, v25
	v_add_f16_e32 v30, v5, v30
	v_fma_f16 v34, v28, 0x3abb, -v34
	v_add_f16_e32 v40, v3, v40
	v_fmac_f16_e32 v44, 0x3853, v42
	v_add_f16_e32 v61, v61, v66
	v_fmamk_f16 v66, v53, 0x3482, v69
	v_mul_f16_e32 v71, 0x36a6, v54
	v_add_f16_e32 v43, v43, v62
	v_fmamk_f16 v62, v26, 0xb08e, v70
	v_mul_f16_e32 v72, 0x3482, v27
	v_add_f16_e32 v30, v30, v34
	v_fma_f16 v34, v31, 0xb93d, -v38
	v_add_f16_e32 v38, v40, v44
	v_fmac_f16_e32 v47, 0xba0c, v48
	v_add_f16_e32 v61, v61, v66
	v_fmamk_f16 v66, v59, 0xbb47, v71
	v_mul_f16_e32 v73, 0xb08e, v36
	v_add_f16_e32 v62, v5, v62
	v_fmamk_f16 v74, v28, 0xbbad, v72
	v_mul_f16_e32 v75, 0x3b47, v29
	v_mul_f16_e32 v82, 0xbb47, v25
	v_add_f16_e32 v30, v30, v34
	v_fma_f16 v34, v33, 0x36a6, -v46
	v_add_f16_e32 v38, v38, v47
	v_fmac_f16_e32 v52, 0x3b47, v53
	v_add_f16_e32 v61, v61, v66
	v_fmamk_f16 v66, v37, 0x3beb, v73
	v_mul_f16_e32 v76, 0xbbad, v41
	v_add_f16_e32 v62, v62, v74
	v_fmamk_f16 v74, v31, 0x36a6, v75
	v_mul_f16_e32 v77, 0xb853, v32
	v_fmamk_f16 v83, v26, 0x36a6, v82
	v_mul_f16_e32 v84, 0xba0c, v27
	v_fma_f16 v58, v26, 0xb93d, -v58
	v_add_f16_e32 v30, v30, v34
	v_fma_f16 v34, v56, 0xb08e, -v55
	v_add_f16_e32 v38, v38, v52
	v_fmac_f16_e32 v57, 0xbbeb, v59
	v_add_f16_e32 v24, v5, v24
	v_add_f16_e32 v17, v3, v17
	;; [unrolled: 1-line block ×3, first 2 shown]
	v_fmamk_f16 v78, v42, 0xb482, v76
	v_mul_f16_e32 v79, 0x36a6, v45
	v_add_f16_e32 v62, v62, v74
	v_fmamk_f16 v74, v33, 0x3abb, v77
	v_mul_f16_e32 v80, 0xba0c, v51
	v_add_f16_e32 v83, v5, v83
	;; [unrolled: 3-line block ×3, first 2 shown]
	v_fma_f16 v60, v28, 0xb08e, -v60
	v_add_f16_e32 v30, v30, v34
	v_add_f16_e32 v34, v38, v57
	v_fma_f16 v38, v26, 0xb08e, -v70
	v_fmac_f16_e32 v73, 0xbbeb, v37
	v_add_f16_e32 v23, v24, v23
	v_add_f16_e32 v16, v17, v16
	;; [unrolled: 1-line block ×3, first 2 shown]
	v_fmamk_f16 v78, v48, 0xbb47, v79
	v_mul_f16_e32 v81, 0x3abb, v49
	v_add_f16_e32 v62, v62, v74
	v_fmamk_f16 v74, v56, 0xb93d, v80
	v_add_f16_e32 v83, v83, v86
	v_fmamk_f16 v86, v31, 0xbbad, v87
	v_mul_f16_e32 v89, 0x3beb, v32
	v_add_f16_e32 v40, v58, v60
	v_fma_f16 v44, v31, 0x3abb, -v63
	v_add_f16_e32 v38, v5, v38
	v_fma_f16 v46, v28, 0xbbad, -v72
	v_add_f16_e32 v47, v3, v73
	v_fmac_f16_e32 v76, 0x3482, v42
	v_add_f16_e32 v21, v23, v21
	v_add_f16_e32 v13, v16, v13
	;; [unrolled: 1-line block ×3, first 2 shown]
	v_fmamk_f16 v78, v53, 0x3853, v81
	v_mul_f16_e32 v85, 0xb93d, v54
	v_add_f16_e32 v62, v62, v74
	v_mul_f16_e32 v74, 0x36a6, v36
	v_add_f16_e32 v83, v83, v86
	v_fmamk_f16 v86, v33, 0xb08e, v89
	v_mul_f16_e32 v92, 0x3853, v51
	v_add_f16_e32 v40, v40, v44
	v_fma_f16 v44, v33, 0xbbad, -v65
	v_add_f16_e32 v38, v38, v46
	v_fma_f16 v46, v31, 0x36a6, -v75
	v_add_f16_e32 v47, v47, v76
	v_fmac_f16_e32 v79, 0x3b47, v48
	v_add_f16_e32 v20, v21, v20
	v_add_f16_e32 v12, v13, v12
	;; [unrolled: 1-line block ×3, first 2 shown]
	v_fmamk_f16 v78, v37, 0x3b47, v74
	v_mul_f16_e32 v88, 0xb93d, v41
	v_fmamk_f16 v94, v59, 0x3a0c, v85
	v_add_f16_e32 v83, v83, v86
	v_fmamk_f16 v86, v56, 0x3abb, v92
	v_mul_f16_e32 v25, 0xb853, v25
	v_mul_f16_e32 v36, 0x3abb, v36
	v_add_f16_e32 v40, v40, v44
	v_fma_f16 v44, v56, 0x36a6, -v68
	v_fmac_f16_e32 v50, 0xba0c, v37
	v_add_f16_e32 v38, v38, v46
	v_fma_f16 v46, v33, 0x3abb, -v77
	v_add_f16_e32 v47, v47, v79
	v_fmac_f16_e32 v81, 0xb853, v53
	v_add_f16_e32 v18, v20, v18
	v_add_f16_e32 v9, v12, v9
	;; [unrolled: 1-line block ×3, first 2 shown]
	v_fmamk_f16 v90, v42, 0x3a0c, v88
	v_mul_f16_e32 v91, 0xbbad, v45
	v_add_f16_e32 v66, v66, v94
	v_add_f16_e32 v83, v83, v86
	v_fmamk_f16 v86, v26, 0x3abb, v25
	v_mul_f16_e32 v27, 0xbb47, v27
	v_fmamk_f16 v94, v37, 0x3853, v36
	v_mul_f16_e32 v41, 0x36a6, v41
	v_add_f16_e32 v40, v40, v44
	v_add_f16_e32 v44, v3, v50
	;; [unrolled: 1-line block ×3, first 2 shown]
	v_fma_f16 v46, v56, 0xb93d, -v80
	v_add_f16_e32 v47, v47, v81
	v_fmac_f16_e32 v85, 0xba0c, v59
	v_fma_f16 v50, v26, 0x36a6, -v82
	v_fma_f16 v12, v26, 0x3abb, -v25
	v_add_f16_e32 v18, v18, v22
	v_add_f16_e32 v9, v9, v14
	v_fmac_f16_e32 v74, 0xbb47, v37
	v_fmac_f16_e32 v36, 0xb853, v37
	v_add_f16_e32 v78, v78, v90
	v_fmamk_f16 v90, v48, 0xb482, v91
	v_mul_f16_e32 v93, 0xb08e, v49
	v_add_f16_e32 v86, v5, v86
	v_fmamk_f16 v95, v28, 0x36a6, v27
	v_mul_f16_e32 v29, 0xbbeb, v29
	v_add_f16_e32 v94, v3, v94
	v_fmamk_f16 v96, v42, 0x3b47, v41
	v_mul_f16_e32 v45, 0xb08e, v45
	v_add_f16_e32 v38, v38, v46
	v_add_f16_e32 v46, v47, v85
	;; [unrolled: 1-line block ×4, first 2 shown]
	v_fma_f16 v12, v28, 0x36a6, -v27
	v_add_f16_e32 v14, v19, v18
	v_add_f16_e32 v9, v10, v9
	v_fmac_f16_e32 v64, 0x3beb, v42
	v_fma_f16 v50, v28, 0xb93d, -v84
	v_add_f16_e32 v52, v3, v74
	v_fmac_f16_e32 v88, 0xba0c, v42
	v_add_f16_e32 v3, v3, v36
	v_fmac_f16_e32 v41, 0xbb47, v42
	v_add_f16_e32 v78, v78, v90
	v_fmamk_f16 v90, v53, 0xbbeb, v93
	v_add_f16_e32 v86, v86, v95
	v_fmamk_f16 v95, v31, 0xb08e, v29
	v_mul_f16_e32 v32, 0xba0c, v32
	v_add_f16_e32 v94, v94, v96
	v_fmamk_f16 v96, v48, 0x3beb, v45
	v_mul_f16_e32 v49, 0xb93d, v49
	v_add_f16_e32 v5, v5, v12
	v_add_f16_e32 v12, v15, v14
	;; [unrolled: 1-line block ×4, first 2 shown]
	v_fmac_f16_e32 v67, 0xb853, v48
	v_add_f16_e32 v47, v47, v50
	v_fma_f16 v50, v31, 0xbbad, -v87
	v_add_f16_e32 v17, v52, v88
	v_fmac_f16_e32 v91, 0x3482, v48
	v_fma_f16 v10, v31, 0xb08e, -v29
	v_add_f16_e32 v3, v3, v41
	v_fmac_f16_e32 v45, 0xbbeb, v48
	v_add_f16_e32 v78, v78, v90
	v_mul_f16_e32 v90, 0x3abb, v54
	v_add_f16_e32 v86, v86, v95
	v_fmamk_f16 v95, v33, 0xb93d, v32
	v_mul_f16_e32 v51, 0xb482, v51
	v_add_f16_e32 v94, v94, v96
	v_fmamk_f16 v96, v53, 0x3a0c, v49
	v_mul_f16_e32 v54, 0xbbad, v54
	v_add_f16_e32 v9, v11, v12
	v_add_f16_e32 v6, v6, v7
	;; [unrolled: 1-line block ×3, first 2 shown]
	v_fmac_f16_e32 v69, 0xb482, v53
	v_add_f16_e32 v24, v47, v50
	v_fma_f16 v16, v33, 0xb08e, -v89
	v_add_f16_e32 v17, v17, v91
	v_fmac_f16_e32 v93, 0x3beb, v53
	v_add_f16_e32 v5, v5, v10
	v_fma_f16 v7, v33, 0xb93d, -v32
	v_add_f16_e32 v3, v3, v45
	v_fmac_f16_e32 v49, 0xba0c, v53
	v_fmamk_f16 v97, v59, 0xb853, v90
	v_add_f16_e32 v86, v86, v95
	v_fmamk_f16 v95, v56, 0xbbad, v51
	v_add_f16_e32 v94, v94, v96
	v_fmamk_f16 v96, v59, 0x3482, v54
	v_add_f16_sdwa v8, v8, v9 dst_sel:WORD_1 dst_unused:UNUSED_PAD src0_sel:DWORD src1_sel:DWORD
	v_add_f16_e32 v4, v4, v6
	v_add_f16_e32 v44, v44, v69
	v_fmac_f16_e32 v71, 0x3b47, v59
	v_add_f16_e32 v13, v24, v16
	v_fma_f16 v16, v56, 0x3abb, -v92
	v_add_f16_e32 v17, v17, v93
	v_fmac_f16_e32 v90, 0x3853, v59
	v_add_f16_e32 v5, v5, v7
	v_fma_f16 v6, v56, 0xbbad, -v51
	v_add_f16_e32 v3, v3, v49
	v_fmac_f16_e32 v54, 0xb482, v59
	v_add_f16_e32 v78, v78, v97
	v_add_f16_e32 v86, v86, v95
	;; [unrolled: 1-line block ×3, first 2 shown]
	v_or_b32_sdwa v4, v8, v4 dst_sel:DWORD dst_unused:UNUSED_PAD src0_sel:DWORD src1_sel:WORD_0
	v_mad_u32_u24 v7, v2, 44, 0
	v_add_f16_e32 v44, v44, v71
	v_add_f16_e32 v8, v13, v16
	;; [unrolled: 1-line block ×5, first 2 shown]
	ds_write_b32 v7, v4
	v_pack_b32_f16 v4, v78, v83
	v_pack_b32_f16 v6, v94, v86
	;; [unrolled: 1-line block ×10, first 2 shown]
	ds_write2_b32 v7, v6, v4 offset0:1 offset1:2
	ds_write2_b32 v7, v11, v10 offset0:3 offset1:4
	;; [unrolled: 1-line block ×5, first 2 shown]
.LBB0_13:
	s_or_b32 exec_lo, exec_lo, s1
	v_and_b32_e32 v13, 0xff, v2
	v_add_nc_u32_e32 v3, 0x63, v2
	s_waitcnt lgkmcnt(0)
	s_barrier
	buffer_gl0_inv
	v_mul_lo_u16 v4, 0x75, v13
	v_and_b32_e32 v5, 0xff, v3
	v_mul_lo_u16 v21, 0xf9, v13
	v_mov_b32_e32 v24, 0x84
	v_mov_b32_e32 v25, 2
	v_lshrrev_b16 v4, 8, v4
	v_mul_lo_u16 v5, 0x75, v5
	v_lshrrev_b16 v21, 13, v21
	v_mov_b32_e32 v23, 5
	v_sub_nc_u16 v6, v2, v4
	v_lshrrev_b16 v5, 8, v5
	v_mul_lo_u16 v22, v21, 33
	v_lshrrev_b16 v6, 1, v6
	v_sub_nc_u16 v7, v3, v5
	v_sub_nc_u16 v22, v2, v22
	v_and_b32_e32 v6, 0x7f, v6
	v_lshrrev_b16 v7, 1, v7
	v_mul_u32_u24_sdwa v23, v22, v23 dst_sel:DWORD dst_unused:UNUSED_PAD src0_sel:BYTE_0 src1_sel:DWORD
	v_add_nc_u16 v4, v6, v4
	v_and_b32_e32 v6, 0x7f, v7
	v_lshlrev_b32_e32 v23, 2, v23
	v_lshrrev_b16 v17, 3, v4
	v_add_nc_u16 v4, v6, v5
	v_mul_lo_u16 v5, v17, 11
	v_lshrrev_b16 v18, 3, v4
	v_mov_b32_e32 v4, 3
	v_mul_u32_u24_sdwa v17, v17, v24 dst_sel:DWORD dst_unused:UNUSED_PAD src0_sel:WORD_0 src1_sel:DWORD
	v_sub_nc_u16 v19, v2, v5
	v_mul_lo_u16 v5, v18, 11
	v_mul_u32_u24_sdwa v18, v18, v24 dst_sel:DWORD dst_unused:UNUSED_PAD src0_sel:WORD_0 src1_sel:DWORD
	v_lshlrev_b32_sdwa v6, v4, v19 dst_sel:DWORD dst_unused:UNUSED_PAD src0_sel:DWORD src1_sel:BYTE_0
	v_sub_nc_u16 v20, v3, v5
	v_lshlrev_b32_sdwa v19, v25, v19 dst_sel:DWORD dst_unused:UNUSED_PAD src0_sel:DWORD src1_sel:BYTE_0
	global_load_dwordx2 v[7:8], v6, s[8:9]
	v_lshlrev_b32_sdwa v4, v4, v20 dst_sel:DWORD dst_unused:UNUSED_PAD src0_sel:DWORD src1_sel:BYTE_0
	v_add3_u32 v17, 0, v17, v19
	v_lshlrev_b32_sdwa v19, v25, v20 dst_sel:DWORD dst_unused:UNUSED_PAD src0_sel:DWORD src1_sel:BYTE_0
	global_load_dwordx2 v[9:10], v4, s[8:9]
	v_lshl_add_u32 v4, v2, 2, 0
	v_add3_u32 v18, 0, v18, v19
	v_add_nc_u32_e32 v5, 0x200, v4
	v_add_nc_u32_e32 v6, 0x400, v4
	ds_read2_b32 v[11:12], v4 offset1:99
	ds_read2_b32 v[13:14], v5 offset0:70 offset1:169
	ds_read2_b32 v[15:16], v6 offset0:140 offset1:239
	ds_read_u16 v26, v4 offset:2
	s_waitcnt vmcnt(0) lgkmcnt(0)
	s_barrier
	buffer_gl0_inv
	v_lshrrev_b32_e32 v27, 16, v12
	v_lshrrev_b32_e32 v28, 16, v13
	;; [unrolled: 1-line block ×5, first 2 shown]
	v_mul_f16_sdwa v20, v7, v28 dst_sel:DWORD dst_unused:UNUSED_PAD src0_sel:WORD_1 src1_sel:DWORD
	v_mul_f16_sdwa v24, v7, v13 dst_sel:DWORD dst_unused:UNUSED_PAD src0_sel:WORD_1 src1_sel:DWORD
	;; [unrolled: 1-line block ×4, first 2 shown]
	v_fma_f16 v13, v7, v13, -v20
	v_fmac_f16_e32 v24, v7, v28
	v_fma_f16 v7, v8, v15, -v32
	v_mul_f16_sdwa v15, v9, v30 dst_sel:DWORD dst_unused:UNUSED_PAD src0_sel:WORD_1 src1_sel:DWORD
	v_mul_f16_sdwa v20, v9, v14 dst_sel:DWORD dst_unused:UNUSED_PAD src0_sel:WORD_1 src1_sel:DWORD
	;; [unrolled: 1-line block ×4, first 2 shown]
	v_fmac_f16_e32 v19, v8, v29
	v_fma_f16 v8, v9, v14, -v15
	v_fmac_f16_e32 v20, v9, v30
	v_fma_f16 v9, v10, v16, -v28
	v_fmac_f16_e32 v32, v10, v31
	v_add_f16_e32 v10, v13, v11
	v_add_f16_e32 v14, v13, v7
	v_sub_f16_e32 v15, v24, v19
	v_add_f16_e32 v16, v26, v24
	v_add_f16_e32 v24, v24, v19
	v_sub_f16_e32 v13, v13, v7
	v_add_f16_e32 v7, v10, v7
	v_fma_f16 v10, -0.5, v14, v11
	v_add_f16_e32 v11, v16, v19
	v_fmac_f16_e32 v26, -0.5, v24
	v_add_f16_e32 v16, v8, v9
	v_sub_f16_e32 v19, v20, v32
	v_add_f16_e32 v24, v27, v20
	v_add_f16_e32 v20, v20, v32
	;; [unrolled: 1-line block ×3, first 2 shown]
	v_sub_f16_e32 v8, v8, v9
	v_fmac_f16_e32 v12, -0.5, v16
	v_fmamk_f16 v28, v15, 0x3aee, v10
	v_fmac_f16_e32 v27, -0.5, v20
	v_fmac_f16_e32 v10, 0xbaee, v15
	v_fmamk_f16 v15, v13, 0xbaee, v26
	v_fmac_f16_e32 v26, 0x3aee, v13
	v_add_f16_e32 v9, v14, v9
	v_add_f16_e32 v13, v24, v32
	v_pack_b32_f16 v7, v7, v11
	v_fmamk_f16 v11, v19, 0x3aee, v12
	v_fmamk_f16 v14, v8, 0xbaee, v27
	v_fmac_f16_e32 v12, 0xbaee, v19
	v_fmac_f16_e32 v27, 0x3aee, v8
	v_pack_b32_f16 v8, v28, v15
	v_pack_b32_f16 v10, v10, v26
	;; [unrolled: 1-line block ×5, first 2 shown]
	ds_write2_b32 v17, v7, v8 offset1:11
	ds_write_b32 v17, v10 offset:88
	ds_write2_b32 v18, v9, v11 offset1:11
	ds_write_b32 v18, v12 offset:88
	s_waitcnt lgkmcnt(0)
	s_barrier
	buffer_gl0_inv
	s_clause 0x1
	global_load_dwordx4 v[7:10], v23, s[8:9] offset:88
	global_load_dword v17, v23, s[8:9] offset:104
	ds_read2_b32 v[11:12], v4 offset1:99
	ds_read2_b32 v[13:14], v5 offset0:70 offset1:169
	ds_read2_b32 v[15:16], v6 offset0:140 offset1:239
	v_mov_b32_e32 v18, 0x318
	v_lshlrev_b32_sdwa v19, v25, v22 dst_sel:DWORD dst_unused:UNUSED_PAD src0_sel:DWORD src1_sel:BYTE_0
	s_waitcnt vmcnt(0) lgkmcnt(0)
	s_barrier
	buffer_gl0_inv
	v_mul_u32_u24_sdwa v18, v21, v18 dst_sel:DWORD dst_unused:UNUSED_PAD src0_sel:WORD_0 src1_sel:DWORD
	v_add3_u32 v18, 0, v18, v19
	v_lshrrev_b32_e32 v20, 16, v12
	v_lshrrev_b32_e32 v21, 16, v13
	;; [unrolled: 1-line block ×6, first 2 shown]
	v_mul_f16_sdwa v25, v7, v20 dst_sel:DWORD dst_unused:UNUSED_PAD src0_sel:WORD_1 src1_sel:DWORD
	v_mul_f16_sdwa v26, v7, v12 dst_sel:DWORD dst_unused:UNUSED_PAD src0_sel:WORD_1 src1_sel:DWORD
	;; [unrolled: 1-line block ×10, first 2 shown]
	v_fma_f16 v12, v7, v12, -v25
	v_fmac_f16_e32 v26, v7, v20
	v_fma_f16 v7, v8, v13, -v27
	v_fmac_f16_e32 v28, v8, v21
	;; [unrolled: 2-line block ×5, first 2 shown]
	v_add_f16_e32 v13, v11, v7
	v_add_f16_e32 v14, v7, v9
	;; [unrolled: 1-line block ×5, first 2 shown]
	v_sub_f16_e32 v15, v28, v32
	v_add_f16_e32 v16, v19, v28
	v_sub_f16_e32 v7, v7, v9
	v_add_f16_e32 v20, v12, v8
	;; [unrolled: 2-line block ×3, first 2 shown]
	v_sub_f16_e32 v8, v8, v10
	v_fmac_f16_e32 v11, -0.5, v14
	v_fmac_f16_e32 v19, -0.5, v17
	;; [unrolled: 1-line block ×4, first 2 shown]
	v_add_f16_e32 v9, v13, v9
	v_add_f16_e32 v13, v16, v32
	;; [unrolled: 1-line block ×3, first 2 shown]
	v_fmamk_f16 v16, v15, 0x3aee, v11
	v_fmac_f16_e32 v11, 0xbaee, v15
	v_fmamk_f16 v15, v7, 0xbaee, v19
	v_fmac_f16_e32 v19, 0x3aee, v7
	v_fmamk_f16 v7, v22, 0x3aee, v12
	v_fmamk_f16 v17, v8, 0xbaee, v26
	v_fmac_f16_e32 v12, 0xbaee, v22
	v_fmac_f16_e32 v26, 0x3aee, v8
	v_add_f16_e32 v14, v23, v34
	v_add_f16_e32 v8, v9, v10
	v_sub_f16_e32 v9, v9, v10
	v_mul_f16_e32 v10, 0x3aee, v17
	v_mul_f16_e32 v22, 0xbaee, v7
	v_mul_f16_e32 v21, -0.5, v12
	v_mul_f16_e32 v23, -0.5, v26
	v_add_f16_e32 v20, v13, v14
	v_fmac_f16_e32 v10, 0.5, v7
	v_fmac_f16_e32 v22, 0.5, v17
	v_fmac_f16_e32 v21, 0x3aee, v26
	v_fmac_f16_e32 v23, 0xbaee, v12
	v_sub_f16_e32 v13, v13, v14
	v_pack_b32_f16 v7, v8, v20
	v_add_f16_e32 v8, v16, v10
	v_add_f16_e32 v14, v15, v22
	;; [unrolled: 1-line block ×4, first 2 shown]
	v_sub_f16_e32 v10, v16, v10
	v_sub_f16_e32 v11, v11, v21
	;; [unrolled: 1-line block ×4, first 2 shown]
	v_pack_b32_f16 v8, v8, v14
	v_pack_b32_f16 v9, v9, v13
	;; [unrolled: 1-line block ×5, first 2 shown]
	ds_write2_b32 v18, v7, v8 offset1:33
	ds_write2_b32 v18, v12, v9 offset0:66 offset1:99
	ds_write2_b32 v18, v10, v11 offset0:132 offset1:165
	s_waitcnt lgkmcnt(0)
	s_barrier
	buffer_gl0_inv
	s_and_saveexec_b32 s0, vcc_lo
	s_cbranch_execz .LBB0_15
; %bb.14:
	v_lshlrev_b32_e32 v7, 1, v3
	v_mov_b32_e32 v8, 0
	v_mad_u64_u32 v[13:14], null, s2, v2, 0
	v_add_nc_u32_e32 v21, 0xc6, v2
	v_mul_hi_u32 v23, 0xa57eb503, v3
	v_lshlrev_b64 v[9:10], 2, v[7:8]
	v_lshlrev_b32_e32 v7, 1, v2
	v_add_nc_u32_e32 v22, 0x18c, v2
	v_mad_u64_u32 v[17:18], null, s2, v21, 0
	v_lshlrev_b64 v[7:8], 2, v[7:8]
	v_add_co_u32 v9, vcc_lo, s8, v9
	v_add_co_ci_u32_e32 v10, vcc_lo, s9, v10, vcc_lo
	v_mad_u64_u32 v[19:20], null, s2, v22, 0
	v_add_co_u32 v7, vcc_lo, s8, v7
	global_load_dwordx2 v[9:10], v[9:10], off offset:748
	v_add_co_ci_u32_e32 v8, vcc_lo, s9, v8, vcc_lo
	v_add_co_u32 v25, vcc_lo, s12, v0
	v_add_co_ci_u32_e32 v26, vcc_lo, s13, v1, vcc_lo
	global_load_dwordx2 v[7:8], v[7:8], off offset:748
	ds_read2_b32 v[11:12], v5 offset0:70 offset1:169
	ds_read2_b32 v[5:6], v6 offset0:140 offset1:239
	ds_read2_b32 v[15:16], v4 offset1:99
	v_mov_b32_e32 v4, v14
	v_lshrrev_b32_e32 v14, 7, v23
	v_mov_b32_e32 v0, v18
	v_mad_u32_u24 v23, 0x18c, v14, v3
	v_add_nc_u32_e32 v24, 0xc6, v23
	v_add_nc_u32_e32 v27, 0x18c, v23
	s_waitcnt lgkmcnt(1)
	v_mad_u64_u32 v[1:2], null, s3, v2, v[4:5]
	v_mov_b32_e32 v2, v20
	s_waitcnt lgkmcnt(0)
	v_lshrrev_b32_e32 v28, 16, v16
	v_lshrrev_b32_e32 v29, 16, v15
	v_mad_u64_u32 v[3:4], null, s3, v21, v[0:1]
	v_mov_b32_e32 v14, v1
	v_mad_u64_u32 v[0:1], null, s2, v24, 0
	v_lshlrev_b64 v[13:14], 2, v[13:14]
	v_mad_u64_u32 v[20:21], null, s3, v22, v[2:3]
	v_mad_u64_u32 v[21:22], null, s2, v23, 0
	v_mov_b32_e32 v18, v3
	v_mad_u64_u32 v[2:3], null, s2, v27, 0
	v_add_co_u32 v13, vcc_lo, v25, v13
	v_lshlrev_b64 v[17:18], 2, v[17:18]
	v_mov_b32_e32 v4, v22
	v_lshlrev_b64 v[19:20], 2, v[19:20]
	v_add_co_ci_u32_e32 v14, vcc_lo, v26, v14, vcc_lo
	v_mad_u64_u32 v[22:23], null, s3, v23, v[4:5]
	v_mad_u64_u32 v[23:24], null, s3, v24, v[1:2]
	;; [unrolled: 1-line block ×3, first 2 shown]
	v_add_co_u32 v17, vcc_lo, v25, v17
	v_lshlrev_b64 v[21:22], 2, v[21:22]
	v_add_co_ci_u32_e32 v18, vcc_lo, v26, v18, vcc_lo
	v_mov_b32_e32 v1, v23
	v_add_co_u32 v19, vcc_lo, v25, v19
	v_add_co_ci_u32_e32 v20, vcc_lo, v26, v20, vcc_lo
	v_lshlrev_b64 v[0:1], 2, v[0:1]
	v_lshlrev_b64 v[2:3], 2, v[2:3]
	v_add_co_u32 v21, vcc_lo, v25, v21
	v_add_co_ci_u32_e32 v22, vcc_lo, v26, v22, vcc_lo
	v_add_co_u32 v0, vcc_lo, v25, v0
	v_add_co_ci_u32_e32 v1, vcc_lo, v26, v1, vcc_lo
	v_add_co_u32 v2, vcc_lo, v25, v2
	v_add_co_ci_u32_e32 v3, vcc_lo, v26, v3, vcc_lo
	s_waitcnt vmcnt(1)
	v_lshrrev_b32_e32 v4, 16, v9
	v_lshrrev_b32_e32 v23, 16, v10
	v_mul_f16_sdwa v24, v9, v12 dst_sel:DWORD dst_unused:UNUSED_PAD src0_sel:DWORD src1_sel:WORD_1
	v_mul_f16_sdwa v27, v10, v6 dst_sel:DWORD dst_unused:UNUSED_PAD src0_sel:DWORD src1_sel:WORD_1
	;; [unrolled: 1-line block ×4, first 2 shown]
	v_fmac_f16_e32 v24, v4, v12
	v_fmac_f16_e32 v27, v23, v6
	s_waitcnt vmcnt(0)
	v_lshrrev_b32_e32 v4, 16, v7
	v_lshrrev_b32_e32 v23, 16, v8
	v_mul_f16_sdwa v30, v7, v11 dst_sel:DWORD dst_unused:UNUSED_PAD src0_sel:DWORD src1_sel:WORD_1
	v_mul_f16_sdwa v31, v8, v5 dst_sel:DWORD dst_unused:UNUSED_PAD src0_sel:DWORD src1_sel:WORD_1
	v_fma_f16 v9, v9, v12, -v25
	v_fma_f16 v6, v10, v6, -v26
	v_add_f16_e32 v10, v24, v27
	v_mul_f16_sdwa v25, v4, v11 dst_sel:DWORD dst_unused:UNUSED_PAD src0_sel:DWORD src1_sel:WORD_1
	v_mul_f16_sdwa v26, v23, v5 dst_sel:DWORD dst_unused:UNUSED_PAD src0_sel:DWORD src1_sel:WORD_1
	v_fmac_f16_e32 v30, v4, v11
	v_fmac_f16_e32 v31, v23, v5
	v_sub_f16_e32 v4, v9, v6
	v_fma_f16 v10, -0.5, v10, v28
	v_fma_f16 v7, v7, v11, -v25
	v_fma_f16 v5, v8, v5, -v26
	v_add_f16_e32 v23, v9, v6
	v_add_f16_e32 v8, v30, v31
	v_fmamk_f16 v26, v4, 0x3aee, v10
	v_fmac_f16_e32 v10, 0xbaee, v4
	v_add_f16_e32 v4, v7, v5
	v_add_f16_e32 v9, v9, v16
	;; [unrolled: 1-line block ×3, first 2 shown]
	v_fma_f16 v16, -0.5, v23, v16
	v_sub_f16_e32 v23, v7, v5
	v_add_f16_e32 v7, v7, v15
	v_sub_f16_e32 v11, v30, v31
	v_fma_f16 v8, -0.5, v8, v29
	v_fma_f16 v4, -0.5, v4, v15
	v_sub_f16_e32 v12, v24, v27
	v_add_f16_e32 v24, v24, v28
	v_add_f16_e32 v6, v9, v6
	;; [unrolled: 1-line block ×4, first 2 shown]
	v_fmamk_f16 v15, v23, 0x3aee, v8
	v_fmac_f16_e32 v8, 0xbaee, v23
	v_fmamk_f16 v7, v11, 0xbaee, v4
	v_fmac_f16_e32 v4, 0x3aee, v11
	v_add_f16_e32 v24, v24, v27
	v_fmamk_f16 v11, v12, 0xbaee, v16
	v_fmac_f16_e32 v16, 0x3aee, v12
	v_pack_b32_f16 v5, v5, v9
	v_pack_b32_f16 v4, v4, v8
	;; [unrolled: 1-line block ×6, first 2 shown]
	global_store_dword v[13:14], v5, off
	global_store_dword v[17:18], v4, off
	;; [unrolled: 1-line block ×6, first 2 shown]
.LBB0_15:
	s_endpgm
	.section	.rodata,"a",@progbits
	.p2align	6, 0x0
	.amdhsa_kernel fft_rtc_fwd_len594_factors_11_3_6_3_wgs_99_tpt_99_half_ip_CI_sbrr_dirReg
		.amdhsa_group_segment_fixed_size 0
		.amdhsa_private_segment_fixed_size 0
		.amdhsa_kernarg_size 88
		.amdhsa_user_sgpr_count 6
		.amdhsa_user_sgpr_private_segment_buffer 1
		.amdhsa_user_sgpr_dispatch_ptr 0
		.amdhsa_user_sgpr_queue_ptr 0
		.amdhsa_user_sgpr_kernarg_segment_ptr 1
		.amdhsa_user_sgpr_dispatch_id 0
		.amdhsa_user_sgpr_flat_scratch_init 0
		.amdhsa_user_sgpr_private_segment_size 0
		.amdhsa_wavefront_size32 1
		.amdhsa_uses_dynamic_stack 0
		.amdhsa_system_sgpr_private_segment_wavefront_offset 0
		.amdhsa_system_sgpr_workgroup_id_x 1
		.amdhsa_system_sgpr_workgroup_id_y 0
		.amdhsa_system_sgpr_workgroup_id_z 0
		.amdhsa_system_sgpr_workgroup_info 0
		.amdhsa_system_vgpr_workitem_id 0
		.amdhsa_next_free_vgpr 98
		.amdhsa_next_free_sgpr 23
		.amdhsa_reserve_vcc 1
		.amdhsa_reserve_flat_scratch 0
		.amdhsa_float_round_mode_32 0
		.amdhsa_float_round_mode_16_64 0
		.amdhsa_float_denorm_mode_32 3
		.amdhsa_float_denorm_mode_16_64 3
		.amdhsa_dx10_clamp 1
		.amdhsa_ieee_mode 1
		.amdhsa_fp16_overflow 0
		.amdhsa_workgroup_processor_mode 1
		.amdhsa_memory_ordered 1
		.amdhsa_forward_progress 0
		.amdhsa_shared_vgpr_count 0
		.amdhsa_exception_fp_ieee_invalid_op 0
		.amdhsa_exception_fp_denorm_src 0
		.amdhsa_exception_fp_ieee_div_zero 0
		.amdhsa_exception_fp_ieee_overflow 0
		.amdhsa_exception_fp_ieee_underflow 0
		.amdhsa_exception_fp_ieee_inexact 0
		.amdhsa_exception_int_div_zero 0
	.end_amdhsa_kernel
	.text
.Lfunc_end0:
	.size	fft_rtc_fwd_len594_factors_11_3_6_3_wgs_99_tpt_99_half_ip_CI_sbrr_dirReg, .Lfunc_end0-fft_rtc_fwd_len594_factors_11_3_6_3_wgs_99_tpt_99_half_ip_CI_sbrr_dirReg
                                        ; -- End function
	.section	.AMDGPU.csdata,"",@progbits
; Kernel info:
; codeLenInByte = 6176
; NumSgprs: 25
; NumVgprs: 98
; ScratchSize: 0
; MemoryBound: 0
; FloatMode: 240
; IeeeMode: 1
; LDSByteSize: 0 bytes/workgroup (compile time only)
; SGPRBlocks: 3
; VGPRBlocks: 12
; NumSGPRsForWavesPerEU: 25
; NumVGPRsForWavesPerEU: 98
; Occupancy: 9
; WaveLimiterHint : 1
; COMPUTE_PGM_RSRC2:SCRATCH_EN: 0
; COMPUTE_PGM_RSRC2:USER_SGPR: 6
; COMPUTE_PGM_RSRC2:TRAP_HANDLER: 0
; COMPUTE_PGM_RSRC2:TGID_X_EN: 1
; COMPUTE_PGM_RSRC2:TGID_Y_EN: 0
; COMPUTE_PGM_RSRC2:TGID_Z_EN: 0
; COMPUTE_PGM_RSRC2:TIDIG_COMP_CNT: 0
	.text
	.p2alignl 6, 3214868480
	.fill 48, 4, 3214868480
	.type	__hip_cuid_c7992a61b128ae60,@object ; @__hip_cuid_c7992a61b128ae60
	.section	.bss,"aw",@nobits
	.globl	__hip_cuid_c7992a61b128ae60
__hip_cuid_c7992a61b128ae60:
	.byte	0                               ; 0x0
	.size	__hip_cuid_c7992a61b128ae60, 1

	.ident	"AMD clang version 19.0.0git (https://github.com/RadeonOpenCompute/llvm-project roc-6.4.0 25133 c7fe45cf4b819c5991fe208aaa96edf142730f1d)"
	.section	".note.GNU-stack","",@progbits
	.addrsig
	.addrsig_sym __hip_cuid_c7992a61b128ae60
	.amdgpu_metadata
---
amdhsa.kernels:
  - .args:
      - .actual_access:  read_only
        .address_space:  global
        .offset:         0
        .size:           8
        .value_kind:     global_buffer
      - .offset:         8
        .size:           8
        .value_kind:     by_value
      - .actual_access:  read_only
        .address_space:  global
        .offset:         16
        .size:           8
        .value_kind:     global_buffer
      - .actual_access:  read_only
        .address_space:  global
        .offset:         24
        .size:           8
        .value_kind:     global_buffer
      - .offset:         32
        .size:           8
        .value_kind:     by_value
      - .actual_access:  read_only
        .address_space:  global
        .offset:         40
        .size:           8
        .value_kind:     global_buffer
      - .actual_access:  read_only
        .address_space:  global
        .offset:         48
        .size:           8
        .value_kind:     global_buffer
      - .offset:         56
        .size:           4
        .value_kind:     by_value
      - .actual_access:  read_only
        .address_space:  global
        .offset:         64
        .size:           8
        .value_kind:     global_buffer
      - .actual_access:  read_only
        .address_space:  global
        .offset:         72
        .size:           8
        .value_kind:     global_buffer
      - .address_space:  global
        .offset:         80
        .size:           8
        .value_kind:     global_buffer
    .group_segment_fixed_size: 0
    .kernarg_segment_align: 8
    .kernarg_segment_size: 88
    .language:       OpenCL C
    .language_version:
      - 2
      - 0
    .max_flat_workgroup_size: 99
    .name:           fft_rtc_fwd_len594_factors_11_3_6_3_wgs_99_tpt_99_half_ip_CI_sbrr_dirReg
    .private_segment_fixed_size: 0
    .sgpr_count:     25
    .sgpr_spill_count: 0
    .symbol:         fft_rtc_fwd_len594_factors_11_3_6_3_wgs_99_tpt_99_half_ip_CI_sbrr_dirReg.kd
    .uniform_work_group_size: 1
    .uses_dynamic_stack: false
    .vgpr_count:     98
    .vgpr_spill_count: 0
    .wavefront_size: 32
    .workgroup_processor_mode: 1
amdhsa.target:   amdgcn-amd-amdhsa--gfx1030
amdhsa.version:
  - 1
  - 2
...

	.end_amdgpu_metadata
